;; amdgpu-corpus repo=ROCm/rocFFT kind=compiled arch=gfx1030 opt=O3
	.text
	.amdgcn_target "amdgcn-amd-amdhsa--gfx1030"
	.amdhsa_code_object_version 6
	.protected	bluestein_single_back_len528_dim1_sp_op_CI_CI ; -- Begin function bluestein_single_back_len528_dim1_sp_op_CI_CI
	.globl	bluestein_single_back_len528_dim1_sp_op_CI_CI
	.p2align	8
	.type	bluestein_single_back_len528_dim1_sp_op_CI_CI,@function
bluestein_single_back_len528_dim1_sp_op_CI_CI: ; @bluestein_single_back_len528_dim1_sp_op_CI_CI
; %bb.0:
	s_load_dwordx4 s[8:11], s[4:5], 0x28
	v_mul_u32_u24_e32 v1, 0x556, v0
	v_mov_b32_e32 v59, 0
	s_mov_b32 s0, exec_lo
	v_lshrrev_b32_e32 v1, 16, v1
	v_add_nc_u32_e32 v58, s6, v1
	s_waitcnt lgkmcnt(0)
	v_cmpx_gt_u64_e64 s[8:9], v[58:59]
	s_cbranch_execz .LBB0_31
; %bb.1:
	s_load_dwordx4 s[0:3], s[4:5], 0x18
	v_mul_lo_u16 v1, v1, 48
	s_waitcnt lgkmcnt(0)
	s_load_dwordx4 s[12:15], s[0:1], 0x0
	s_load_dwordx2 s[0:1], s[4:5], 0x0
	v_sub_nc_u16 v22, v0, v1
	v_and_b32_e32 v76, 0xffff, v22
	v_lshlrev_b32_e32 v75, 3, v76
	s_waitcnt lgkmcnt(0)
	s_clause 0x1
	global_load_dwordx2 v[67:68], v75, s[0:1]
	global_load_dwordx2 v[56:57], v75, s[0:1] offset:1440
	v_mad_u64_u32 v[0:1], null, s14, v58, 0
	v_mad_u64_u32 v[2:3], null, s12, v76, 0
	v_add_co_u32 v52, s6, s0, v75
	v_add_co_ci_u32_e64 v53, null, s1, 0, s6
	s_clause 0x1
	global_load_dwordx2 v[69:70], v75, s[0:1] offset:1056
	global_load_dwordx2 v[59:60], v75, s[0:1] offset:384
	v_add_co_u32 v54, vcc_lo, 0x800, v52
	v_mad_u64_u32 v[4:5], null, s15, v58, v[1:2]
	v_add_co_ci_u32_e32 v55, vcc_lo, 0, v53, vcc_lo
	s_mul_i32 s1, s13, 0x84
	s_mul_hi_u32 s7, s12, 0x84
	s_mul_i32 s0, s12, 0x84
	s_mul_hi_u32 s9, s12, 0xfffffea4
	v_mad_u64_u32 v[5:6], null, s13, v76, v[3:4]
	v_mov_b32_e32 v1, v4
	s_add_i32 s1, s7, s1
	s_mul_i32 s8, s13, 0xfffffea4
	s_mul_i32 s6, s12, 0xfffffea4
	s_sub_i32 s7, s9, s12
	v_lshlrev_b64 v[0:1], 3, v[0:1]
	v_mov_b32_e32 v3, v5
	s_lshl_b64 s[12:13], s[0:1], 3
	s_clause 0x1
	global_load_dwordx2 v[71:72], v[54:55], off offset:64
	global_load_dwordx2 v[61:62], v[54:55], off offset:1120
	s_add_i32 s7, s7, s8
	v_lshlrev_b64 v[2:3], 3, v[2:3]
	v_add_co_u32 v0, vcc_lo, s10, v0
	v_add_co_ci_u32_e32 v1, vcc_lo, s11, v1, vcc_lo
	s_lshl_b64 s[0:1], s[6:7], 3
	v_add_co_u32 v0, vcc_lo, v0, v2
	v_add_co_ci_u32_e32 v1, vcc_lo, v1, v3, vcc_lo
	s_load_dwordx2 s[6:7], s[4:5], 0x38
	v_add_co_u32 v2, vcc_lo, v0, s12
	v_add_co_ci_u32_e32 v3, vcc_lo, s13, v1, vcc_lo
	v_add_co_u32 v4, vcc_lo, v2, s12
	v_add_co_ci_u32_e32 v5, vcc_lo, s13, v3, vcc_lo
	s_clause 0x1
	global_load_dwordx2 v[6:7], v[0:1], off
	global_load_dwordx2 v[2:3], v[2:3], off
	v_add_co_u32 v0, vcc_lo, v4, s12
	v_add_co_ci_u32_e32 v1, vcc_lo, s13, v5, vcc_lo
	s_clause 0x1
	global_load_dwordx2 v[4:5], v[4:5], off
	global_load_dwordx2 v[10:11], v[0:1], off
	v_add_co_u32 v8, vcc_lo, v0, s0
	v_add_co_ci_u32_e32 v9, vcc_lo, s1, v1, vcc_lo
	v_add_co_u32 v0, vcc_lo, v8, s12
	v_add_co_ci_u32_e32 v1, vcc_lo, s13, v9, vcc_lo
	global_load_dwordx2 v[8:9], v[8:9], off
	v_add_co_u32 v12, vcc_lo, v0, s12
	v_add_co_ci_u32_e32 v13, vcc_lo, s13, v1, vcc_lo
	global_load_dwordx2 v[14:15], v[0:1], off
	v_add_co_u32 v0, vcc_lo, v12, s12
	v_add_co_ci_u32_e32 v1, vcc_lo, s13, v13, vcc_lo
	s_clause 0x1
	global_load_dwordx2 v[63:64], v[54:55], off offset:1504
	global_load_dwordx2 v[65:66], v[54:55], off offset:448
	global_load_dwordx2 v[12:13], v[12:13], off
	global_load_dwordx2 v[16:17], v[0:1], off
	s_load_dwordx4 s[8:11], s[2:3], 0x0
	v_cmp_gt_u16_e32 vcc_lo, 36, v22
	s_waitcnt vmcnt(9)
	v_mul_f32_e32 v18, v7, v68
	s_waitcnt vmcnt(8)
	v_mul_f32_e32 v20, v3, v70
	v_mul_f32_e32 v21, v2, v70
	;; [unrolled: 1-line block ×3, first 2 shown]
	v_fmac_f32_e32 v18, v6, v67
	v_fmac_f32_e32 v20, v2, v69
	v_fma_f32 v21, v3, v69, -v21
	s_waitcnt vmcnt(7)
	v_mul_f32_e32 v2, v5, v72
	v_mul_f32_e32 v3, v4, v72
	v_fma_f32 v19, v7, v67, -v19
	s_waitcnt vmcnt(6)
	v_mul_f32_e32 v6, v11, v62
	v_mul_f32_e32 v7, v10, v62
	v_fmac_f32_e32 v2, v4, v71
	v_fma_f32 v3, v5, v71, -v3
	ds_write_b64 v75, v[20:21] offset:1056
	v_fmac_f32_e32 v6, v10, v61
	v_fma_f32 v7, v11, v61, -v7
	s_waitcnt vmcnt(5)
	v_mul_f32_e32 v4, v9, v60
	v_mul_f32_e32 v5, v8, v60
	ds_write_b64 v75, v[2:3] offset:2112
	ds_write_b64 v75, v[6:7] offset:3168
	s_waitcnt vmcnt(4)
	v_mul_f32_e32 v2, v15, v57
	v_mul_f32_e32 v3, v14, v57
	v_fmac_f32_e32 v4, v8, v59
	v_fma_f32 v5, v9, v59, -v5
	s_waitcnt vmcnt(1)
	v_mul_f32_e32 v6, v13, v66
	v_mul_f32_e32 v7, v12, v66
	s_waitcnt vmcnt(0)
	v_mul_f32_e32 v8, v17, v64
	v_mul_f32_e32 v9, v16, v64
	v_fmac_f32_e32 v2, v14, v56
	v_fma_f32 v3, v15, v56, -v3
	v_fmac_f32_e32 v6, v12, v65
	v_fma_f32 v7, v13, v65, -v7
	;; [unrolled: 2-line block ×3, first 2 shown]
	ds_write2_b64 v75, v[18:19], v[4:5] offset1:48
	ds_write_b64 v75, v[2:3] offset:1440
	ds_write_b64 v75, v[6:7] offset:2496
	;; [unrolled: 1-line block ×3, first 2 shown]
	s_and_saveexec_b32 s2, vcc_lo
	s_cbranch_execz .LBB0_3
; %bb.2:
	v_add_co_u32 v0, s0, v0, s0
	v_add_co_ci_u32_e64 v1, s0, s1, v1, s0
	v_add_co_u32 v2, s0, v0, s12
	v_add_co_ci_u32_e64 v3, s0, s13, v1, s0
	global_load_dwordx2 v[4:5], v[52:53], off offset:768
	global_load_dwordx2 v[0:1], v[0:1], off
	global_load_dwordx2 v[6:7], v[2:3], off
	v_add_co_u32 v2, s0, v2, s12
	v_add_co_ci_u32_e64 v3, s0, s13, v3, s0
	global_load_dwordx2 v[8:9], v[52:53], off offset:1824
	v_add_co_u32 v10, s0, v2, s12
	v_add_co_ci_u32_e64 v11, s0, s13, v3, s0
	global_load_dwordx2 v[2:3], v[2:3], off
	s_clause 0x1
	global_load_dwordx2 v[12:13], v[54:55], off offset:832
	global_load_dwordx2 v[14:15], v[54:55], off offset:1888
	global_load_dwordx2 v[10:11], v[10:11], off
	s_waitcnt vmcnt(6)
	v_mul_f32_e32 v17, v0, v5
	v_mul_f32_e32 v16, v1, v5
	v_fma_f32 v17, v1, v4, -v17
	s_waitcnt vmcnt(4)
	v_mul_f32_e32 v5, v7, v9
	v_mul_f32_e32 v1, v6, v9
	v_fmac_f32_e32 v16, v0, v4
	s_waitcnt vmcnt(2)
	v_mul_f32_e32 v0, v3, v13
	v_mul_f32_e32 v4, v2, v13
	s_waitcnt vmcnt(0)
	v_mul_f32_e32 v9, v11, v15
	v_mul_f32_e32 v13, v10, v15
	v_fmac_f32_e32 v5, v6, v8
	v_fma_f32 v6, v7, v8, -v1
	v_fmac_f32_e32 v0, v2, v12
	v_fma_f32 v1, v3, v12, -v4
	;; [unrolled: 2-line block ×3, first 2 shown]
	v_add_nc_u32_e32 v2, 0x800, v75
	ds_write2_b64 v75, v[16:17], v[5:6] offset0:96 offset1:228
	ds_write2_b64 v2, v[0:1], v[9:10] offset0:104 offset1:236
.LBB0_3:
	s_or_b32 exec_lo, exec_lo, s2
	v_add_nc_u32_e32 v4, 0x800, v75
	s_waitcnt lgkmcnt(0)
	s_barrier
	buffer_gl0_inv
	ds_read2_b64 v[8:11], v75 offset1:48
	ds_read2_b64 v[12:15], v75 offset0:132 offset1:180
	ds_read2_b64 v[16:19], v4 offset0:8 offset1:56
	ds_read2_b64 v[20:23], v4 offset0:140 offset1:188
                                        ; implicit-def: $vgpr6
                                        ; implicit-def: $vgpr2
	s_and_saveexec_b32 s0, vcc_lo
	s_cbranch_execz .LBB0_5
; %bb.4:
	ds_read2_b64 v[0:3], v75 offset0:96 offset1:228
	ds_read2_b64 v[4:7], v4 offset0:104 offset1:236
.LBB0_5:
	s_or_b32 exec_lo, exec_lo, s0
	s_waitcnt lgkmcnt(1)
	v_sub_f32_e32 v24, v8, v16
	s_waitcnt lgkmcnt(0)
	v_sub_f32_e32 v20, v12, v20
	v_sub_f32_e32 v25, v9, v17
	;; [unrolled: 1-line block ×4, first 2 shown]
	v_fma_f32 v8, v8, 2.0, -v24
	v_fma_f32 v12, v12, 2.0, -v20
	;; [unrolled: 1-line block ×4, first 2 shown]
	v_sub_f32_e32 v27, v14, v22
	v_sub_f32_e32 v28, v11, v19
	;; [unrolled: 1-line block ×5, first 2 shown]
	v_fma_f32 v13, v14, 2.0, -v27
	v_fma_f32 v11, v11, 2.0, -v28
	;; [unrolled: 1-line block ×4, first 2 shown]
	v_sub_f32_e32 v10, v15, v23
	v_sub_f32_e32 v4, v0, v4
	;; [unrolled: 1-line block ×5, first 2 shown]
	v_fma_f32 v21, v15, 2.0, -v10
	v_add_f32_e32 v19, v25, v20
	v_sub_f32_e32 v20, v8, v13
	v_fma_f32 v0, v0, 2.0, -v4
	v_fma_f32 v1, v1, 2.0, -v5
	v_sub_f32_e32 v21, v11, v21
	v_fma_f32 v2, v2, 2.0, -v6
	v_fma_f32 v3, v3, 2.0, -v7
	v_add_co_u32 v33, null, v76, 48
	v_add_co_u32 v32, null, 0x60, v76
	v_fma_f32 v13, v9, 2.0, -v17
	v_fma_f32 v14, v24, 2.0, -v18
	;; [unrolled: 1-line block ×4, first 2 shown]
	v_sub_f32_e32 v22, v26, v10
	v_fma_f32 v25, v11, 2.0, -v21
	v_add_f32_e32 v23, v28, v27
	v_sub_f32_e32 v8, v0, v2
	v_sub_f32_e32 v9, v1, v3
	v_sub_f32_e32 v10, v4, v7
	v_add_f32_e32 v11, v6, v5
	v_fma_f32 v27, v28, 2.0, -v23
	v_fma_f32 v0, v0, 2.0, -v8
	;; [unrolled: 1-line block ×5, first 2 shown]
	v_lshlrev_b32_e32 v82, 5, v76
	v_lshlrev_b32_e32 v28, 2, v76
	;; [unrolled: 1-line block ×5, first 2 shown]
	v_fma_f32 v26, v26, 2.0, -v22
	s_barrier
	buffer_gl0_inv
	ds_write_b128 v82, v[12:15]
	ds_write_b128 v82, v[16:19] offset:16
	ds_write_b128 v83, v[24:27]
	ds_write_b128 v83, v[20:23] offset:16
	s_and_saveexec_b32 s0, vcc_lo
	s_cbranch_execz .LBB0_7
; %bb.6:
	ds_write_b128 v81, v[0:3]
	ds_write_b128 v81, v[8:11] offset:16
.LBB0_7:
	s_or_b32 exec_lo, exec_lo, s0
	v_add_nc_u32_e32 v4, 0x800, v75
	s_waitcnt lgkmcnt(0)
	s_barrier
	buffer_gl0_inv
	ds_read2_b64 v[12:15], v75 offset1:48
	ds_read2_b64 v[20:23], v75 offset0:132 offset1:180
	ds_read2_b64 v[16:19], v4 offset0:8 offset1:56
	;; [unrolled: 1-line block ×3, first 2 shown]
	s_load_dwordx2 s[2:3], s[4:5], 0x8
	s_and_saveexec_b32 s0, vcc_lo
	s_cbranch_execz .LBB0_9
; %bb.8:
	ds_read2_b64 v[0:3], v75 offset0:96 offset1:228
	ds_read2_b64 v[8:11], v4 offset0:104 offset1:236
.LBB0_9:
	s_or_b32 exec_lo, exec_lo, s0
	v_and_b32_e32 v77, 3, v76
	v_lshlrev_b32_e32 v79, 2, v32
	s_waitcnt lgkmcnt(0)
	v_mad_u64_u32 v[30:31], null, v77, 24, s[2:3]
	v_and_or_b32 v28, 0xf0, v28, v77
	v_and_or_b32 v29, 0x1f0, v29, v77
	s_clause 0x1
	global_load_dwordx4 v[4:7], v[30:31], off
	global_load_dwordx2 v[73:74], v[30:31], off offset:16
	v_lshlrev_b32_e32 v84, 3, v28
	v_lshlrev_b32_e32 v80, 3, v29
	s_waitcnt vmcnt(0)
	s_barrier
	buffer_gl0_inv
	v_mul_f32_e32 v28, v21, v5
	v_mul_f32_e32 v29, v20, v5
	;; [unrolled: 1-line block ×18, first 2 shown]
	v_fma_f32 v20, v20, v4, -v28
	v_fmac_f32_e32 v29, v21, v4
	v_fma_f32 v16, v16, v6, -v30
	v_fmac_f32_e32 v31, v17, v6
	;; [unrolled: 2-line block ×9, first 2 shown]
	v_sub_f32_e32 v8, v12, v16
	v_sub_f32_e32 v9, v13, v31
	;; [unrolled: 1-line block ×12, first 2 shown]
	v_fma_f32 v25, v12, 2.0, -v8
	v_fma_f32 v30, v13, 2.0, -v9
	v_fma_f32 v20, v20, 2.0, -v10
	v_fma_f32 v31, v29, 2.0, -v11
	v_sub_f32_e32 v2, v8, v11
	v_add_f32_e32 v3, v9, v10
	v_fma_f32 v34, v14, 2.0, -v23
	v_fma_f32 v35, v15, 2.0, -v24
	;; [unrolled: 1-line block ×8, first 2 shown]
	v_sub_f32_e32 v28, v26, v19
	v_add_f32_e32 v29, v27, v18
	v_sub_f32_e32 v12, v23, v17
	v_sub_f32_e32 v14, v25, v20
	;; [unrolled: 1-line block ×3, first 2 shown]
	v_add_f32_e32 v13, v24, v16
	v_sub_f32_e32 v18, v34, v10
	v_sub_f32_e32 v19, v35, v11
	v_fma_f32 v16, v8, 2.0, -v2
	v_fma_f32 v17, v9, 2.0, -v3
	v_sub_f32_e32 v10, v0, v22
	v_sub_f32_e32 v11, v1, v36
	v_fma_f32 v8, v26, 2.0, -v28
	v_fma_f32 v9, v27, 2.0, -v29
	;; [unrolled: 1-line block ×8, first 2 shown]
	ds_write2_b64 v84, v[14:15], v[2:3] offset0:8 offset1:12
	ds_write2_b64 v84, v[22:23], v[16:17] offset1:4
	ds_write2_b64 v80, v[24:25], v[20:21] offset1:4
	ds_write2_b64 v80, v[18:19], v[12:13] offset0:8 offset1:12
	s_and_saveexec_b32 s0, vcc_lo
	s_cbranch_execz .LBB0_11
; %bb.10:
	v_and_or_b32 v2, 0x3f0, v79, v77
	v_fma_f32 v1, v1, 2.0, -v11
	v_fma_f32 v0, v0, 2.0, -v10
	v_lshlrev_b32_e32 v2, 3, v2
	ds_write2_b64 v2, v[0:1], v[8:9] offset1:4
	ds_write2_b64 v2, v[10:11], v[28:29] offset0:8 offset1:12
.LBB0_11:
	s_or_b32 exec_lo, exec_lo, s0
	v_add_nc_u32_e32 v1, 0x800, v75
	v_add_nc_u32_e32 v0, 0x400, v75
	s_waitcnt lgkmcnt(0)
	s_barrier
	buffer_gl0_inv
	ds_read2_b64 v[16:19], v75 offset1:48
	ds_read2_b64 v[12:15], v75 offset0:96 offset1:176
	ds_read2_b64 v[24:27], v1 offset0:96 offset1:144
	ds_read2_b64 v[20:23], v0 offset0:96 offset1:144
	ds_read_b64 v[30:31], v75 offset:3584
	v_cmp_gt_u16_e64 s0, 32, v76
	s_and_saveexec_b32 s1, s0
	s_cbranch_execz .LBB0_13
; %bb.12:
	ds_read2_b64 v[8:11], v0 offset0:16 offset1:192
	ds_read_b64 v[28:29], v75 offset:3968
.LBB0_13:
	s_or_b32 exec_lo, exec_lo, s1
	v_and_b32_e32 v78, 15, v76
	v_lshrrev_b32_e32 v34, 4, v76
	v_lshrrev_b32_e32 v33, 4, v33
	;; [unrolled: 1-line block ×3, first 2 shown]
	v_add_co_u32 v35, null, 0x90, v76
	v_lshlrev_b32_e32 v0, 4, v78
	v_mul_u32_u24_e32 v34, 48, v34
	v_mul_u32_u24_e32 v33, 48, v33
	;; [unrolled: 1-line block ×3, first 2 shown]
	v_lshrrev_b32_e32 v85, 4, v35
	global_load_dwordx4 v[0:3], v0, s[2:3] offset:96
	v_or_b32_e32 v34, v34, v78
	v_or_b32_e32 v33, v33, v78
	v_or_b32_e32 v32, v32, v78
	s_waitcnt vmcnt(0) lgkmcnt(0)
	s_barrier
	v_lshlrev_b32_e32 v88, 3, v34
	v_lshlrev_b32_e32 v87, 3, v33
	;; [unrolled: 1-line block ×3, first 2 shown]
	buffer_gl0_inv
	v_mul_f32_e32 v34, v15, v1
	v_mul_f32_e32 v35, v14, v1
	v_mul_f32_e32 v36, v25, v3
	v_mul_f32_e32 v37, v24, v3
	v_mul_f32_e32 v46, v11, v1
	v_mul_f32_e32 v33, v10, v1
	v_mul_f32_e32 v47, v29, v3
	v_mul_f32_e32 v32, v28, v3
	v_mul_f32_e32 v38, v21, v1
	v_mul_f32_e32 v39, v20, v1
	v_mul_f32_e32 v40, v27, v3
	v_mul_f32_e32 v41, v26, v3
	v_mul_f32_e32 v42, v23, v1
	v_mul_f32_e32 v43, v22, v1
	v_mul_f32_e32 v44, v31, v3
	v_mul_f32_e32 v45, v30, v3
	v_fma_f32 v34, v14, v0, -v34
	v_fmac_f32_e32 v35, v15, v0
	v_fma_f32 v24, v24, v2, -v36
	v_fmac_f32_e32 v37, v25, v2
	;; [unrolled: 2-line block ×8, first 2 shown]
	v_add_f32_e32 v21, v16, v34
	v_add_f32_e32 v22, v34, v24
	;; [unrolled: 1-line block ×9, first 2 shown]
	v_sub_f32_e32 v42, v43, v45
	v_add_f32_e32 v44, v13, v43
	v_add_f32_e32 v43, v43, v45
	v_sub_f32_e32 v29, v35, v37
	v_sub_f32_e32 v30, v34, v24
	v_add_f32_e32 v28, v18, v15
	v_sub_f32_e32 v35, v39, v41
	v_add_f32_e32 v34, v19, v39
	;; [unrolled: 2-line block ×3, first 2 shown]
	v_sub_f32_e32 v46, v20, v26
	v_sub_f32_e32 v11, v33, v32
	;; [unrolled: 1-line block ×3, first 2 shown]
	v_add_f32_e32 v20, v21, v24
	v_fma_f32 v22, -0.5, v22, v16
	v_add_f32_e32 v21, v23, v37
	v_fma_f32 v23, -0.5, v27, v17
	v_fma_f32 v16, -0.5, v47, v8
	;; [unrolled: 1-line block ×4, first 2 shown]
	v_fmac_f32_e32 v19, -0.5, v36
	v_fma_f32 v12, -0.5, v40, v12
	v_fmac_f32_e32 v13, -0.5, v43
	v_add_f32_e32 v24, v28, v25
	v_fmamk_f32 v28, v29, 0x3f5db3d7, v22
	v_fmac_f32_e32 v22, 0xbf5db3d7, v29
	v_fmamk_f32 v29, v30, 0xbf5db3d7, v23
	v_fmac_f32_e32 v23, 0x3f5db3d7, v30
	v_fmamk_f32 v30, v11, 0xbf5db3d7, v16
	v_fmamk_f32 v31, v15, 0x3f5db3d7, v17
	v_add_f32_e32 v25, v34, v41
	v_fmamk_f32 v34, v35, 0x3f5db3d7, v18
	v_fmac_f32_e32 v18, 0xbf5db3d7, v35
	v_fmamk_f32 v35, v38, 0xbf5db3d7, v19
	v_fmac_f32_e32 v19, 0x3f5db3d7, v38
	v_add_f32_e32 v26, v39, v26
	v_add_f32_e32 v27, v44, v45
	v_fmamk_f32 v36, v42, 0x3f5db3d7, v12
	v_fmamk_f32 v37, v46, 0xbf5db3d7, v13
	v_fmac_f32_e32 v12, 0xbf5db3d7, v42
	v_fmac_f32_e32 v13, 0x3f5db3d7, v46
	ds_write2_b64 v88, v[20:21], v[28:29] offset1:16
	ds_write_b64 v88, v[22:23] offset:256
	ds_write2_b64 v87, v[24:25], v[34:35] offset1:16
	ds_write_b64 v87, v[18:19] offset:256
	;; [unrolled: 2-line block ×3, first 2 shown]
	s_and_saveexec_b32 s1, s0
	s_cbranch_execz .LBB0_15
; %bb.14:
	v_mul_u32_u24_e32 v12, 48, v85
	v_mul_f32_e32 v13, 0x3f5db3d7, v15
	v_mul_f32_e32 v11, 0x3f5db3d7, v11
	v_add_f32_e32 v15, v9, v33
	v_add_f32_e32 v14, v8, v14
	v_or_b32_e32 v12, v12, v78
	v_sub_f32_e32 v9, v17, v13
	v_add_f32_e32 v8, v11, v16
	v_add_f32_e32 v11, v15, v32
	;; [unrolled: 1-line block ×3, first 2 shown]
	v_lshlrev_b32_e32 v12, 3, v12
	ds_write2_b64 v12, v[10:11], v[8:9] offset1:16
	ds_write_b64 v12, v[30:31] offset:256
.LBB0_15:
	s_or_b32 exec_lo, exec_lo, s1
	v_mad_u64_u32 v[16:17], null, 0x50, v76, s[2:3]
	s_waitcnt lgkmcnt(0)
	s_barrier
	buffer_gl0_inv
	v_add_nc_u32_e32 v89, 0x800, v75
	v_add_co_u32 v90, s1, 0x1000, v52
	s_clause 0x4
	global_load_dwordx4 v[24:27], v[16:17], off offset:352
	global_load_dwordx4 v[20:23], v[16:17], off offset:368
	;; [unrolled: 1-line block ×5, first 2 shown]
	ds_read2_b64 v[32:35], v75 offset1:48
	ds_read2_b64 v[48:51], v75 offset0:96 offset1:144
	ds_read2_b64 v[44:47], v75 offset0:192 offset1:240
	;; [unrolled: 1-line block ×4, first 2 shown]
	ds_read_b64 v[28:29], v75 offset:3840
	v_add_co_ci_u32_e64 v91, s1, 0, v53, s1
	s_waitcnt vmcnt(4) lgkmcnt(5)
	v_mul_f32_e32 v92, v35, v25
	v_mul_f32_e32 v93, v34, v25
	s_waitcnt lgkmcnt(4)
	v_mul_f32_e32 v94, v49, v27
	v_mul_f32_e32 v95, v48, v27
	s_waitcnt vmcnt(2) lgkmcnt(3)
	v_mul_f32_e32 v101, v46, v13
	s_waitcnt vmcnt(0) lgkmcnt(0)
	v_mul_f32_e32 v110, v29, v19
	v_mul_f32_e32 v111, v28, v19
	v_fma_f32 v34, v34, v24, -v92
	v_fmac_f32_e32 v93, v35, v24
	v_mul_f32_e32 v96, v51, v21
	v_mul_f32_e32 v97, v50, v21
	;; [unrolled: 1-line block ×13, first 2 shown]
	v_fma_f32 v35, v48, v26, -v94
	v_fmac_f32_e32 v95, v49, v26
	v_fmac_f32_e32 v101, v47, v12
	v_fma_f32 v47, v28, v18, -v110
	v_fmac_f32_e32 v111, v29, v18
	v_add_f32_e32 v28, v32, v34
	v_add_f32_e32 v29, v33, v93
	v_fma_f32 v48, v50, v20, -v96
	v_fmac_f32_e32 v97, v51, v20
	v_fma_f32 v44, v44, v22, -v98
	v_fmac_f32_e32 v99, v45, v22
	v_fma_f32 v45, v46, v12, -v100
	v_fma_f32 v40, v40, v14, -v102
	v_fmac_f32_e32 v103, v41, v14
	v_fma_f32 v41, v42, v8, -v104
	v_fmac_f32_e32 v105, v43, v8
	v_fma_f32 v36, v36, v10, -v106
	v_fmac_f32_e32 v107, v37, v10
	v_fma_f32 v46, v38, v16, -v108
	v_fmac_f32_e32 v109, v39, v16
	v_add_f32_e32 v37, v34, v47
	v_sub_f32_e32 v34, v34, v47
	v_sub_f32_e32 v39, v93, v111
	v_add_f32_e32 v28, v28, v35
	v_add_f32_e32 v29, v29, v95
	v_add_f32_e32 v38, v93, v111
	v_add_f32_e32 v42, v35, v46
	v_add_f32_e32 v43, v95, v109
	v_sub_f32_e32 v49, v35, v46
	v_sub_f32_e32 v50, v95, v109
	;; [unrolled: 1-line block ×8, first 2 shown]
	v_mul_f32_e32 v35, 0xbf0a6770, v39
	v_mul_f32_e32 v95, 0xbf0a6770, v34
	;; [unrolled: 1-line block ×7, first 2 shown]
	v_add_f32_e32 v28, v28, v48
	v_add_f32_e32 v29, v29, v97
	;; [unrolled: 1-line block ×8, first 2 shown]
	v_mul_f32_e32 v117, 0xbf4178ce, v34
	v_mul_f32_e32 v39, 0xbe903f40, v39
	;; [unrolled: 1-line block ×43, first 2 shown]
	v_fma_f32 v150, 0x3f575c64, v37, -v35
	v_fmamk_f32 v151, v38, 0x3f575c64, v95
	v_fma_f32 v95, 0x3f575c64, v38, -v95
	v_fma_f32 v152, 0x3ed4b147, v37, -v112
	v_fmamk_f32 v153, v38, 0x3ed4b147, v113
	v_fmac_f32_e32 v112, 0x3ed4b147, v37
	v_fma_f32 v113, 0x3ed4b147, v38, -v113
	v_fma_f32 v154, 0xbe11bafb, v37, -v114
	v_fmamk_f32 v155, v38, 0xbe11bafb, v115
	v_fmac_f32_e32 v114, 0xbe11bafb, v37
	v_fma_f32 v115, 0xbe11bafb, v38, -v115
	v_fma_f32 v156, 0xbf27a4f4, v37, -v116
	v_fmac_f32_e32 v116, 0xbf27a4f4, v37
	v_add_f32_e32 v28, v28, v44
	v_add_f32_e32 v29, v29, v99
	v_fmac_f32_e32 v35, 0x3f575c64, v37
	v_fmamk_f32 v157, v38, 0xbf27a4f4, v117
	v_fma_f32 v117, 0xbf27a4f4, v38, -v117
	v_fma_f32 v158, 0xbf75a155, v37, -v39
	v_fmamk_f32 v159, v38, 0xbf75a155, v34
	v_fmac_f32_e32 v39, 0xbf75a155, v37
	v_fma_f32 v34, 0xbf75a155, v38, -v34
	v_fma_f32 v37, 0x3ed4b147, v42, -v118
	v_fmamk_f32 v38, v43, 0x3ed4b147, v119
	v_fmac_f32_e32 v118, 0x3ed4b147, v42
	;; [unrolled: 4-line block ×5, first 2 shown]
	v_fma_f32 v125, 0xbe11bafb, v43, -v125
	v_fma_f32 v166, 0x3f575c64, v42, -v50
	v_fmac_f32_e32 v50, 0x3f575c64, v42
	v_fmamk_f32 v42, v43, 0x3f575c64, v49
	v_fma_f32 v43, 0x3f575c64, v43, -v49
	v_fma_f32 v49, 0xbe11bafb, v92, -v126
	v_fmac_f32_e32 v126, 0xbe11bafb, v92
	v_fma_f32 v167, 0xbf75a155, v92, -v127
	v_fmac_f32_e32 v127, 0xbf75a155, v92
	v_fma_f32 v168, 0x3ed4b147, v92, -v128
	v_fmac_f32_e32 v128, 0x3ed4b147, v92
	v_fma_f32 v169, 0x3f575c64, v92, -v129
	v_fmac_f32_e32 v129, 0x3f575c64, v92
	v_fma_f32 v170, 0xbf27a4f4, v92, -v51
	v_fmac_f32_e32 v51, 0xbf27a4f4, v92
	v_fmamk_f32 v48, v94, 0xbe11bafb, v130
	v_fma_f32 v92, 0xbe11bafb, v94, -v130
	v_fmamk_f32 v97, v94, 0xbf75a155, v131
	v_fma_f32 v130, 0xbf75a155, v94, -v131
	v_fmamk_f32 v131, v94, 0x3ed4b147, v132
	v_fma_f32 v132, 0x3ed4b147, v94, -v132
	v_fmamk_f32 v171, v94, 0x3f575c64, v133
	v_fma_f32 v133, 0x3f575c64, v94, -v133
	v_fmamk_f32 v172, v94, 0xbf27a4f4, v93
	v_fma_f32 v93, 0xbf27a4f4, v94, -v93
	v_fma_f32 v94, 0xbf27a4f4, v98, -v134
	v_fmac_f32_e32 v134, 0xbf27a4f4, v98
	v_fma_f32 v173, 0xbe11bafb, v98, -v135
	v_fmac_f32_e32 v135, 0xbe11bafb, v98
	v_fma_f32 v174, 0x3f575c64, v98, -v136
	v_fmac_f32_e32 v136, 0x3f575c64, v98
	v_fma_f32 v175, 0xbf75a155, v98, -v137
	v_fmac_f32_e32 v137, 0xbf75a155, v98
	v_fma_f32 v176, 0x3ed4b147, v98, -v96
	v_fmac_f32_e32 v96, 0x3ed4b147, v98
	v_fmamk_f32 v98, v102, 0xbf27a4f4, v138
	v_fma_f32 v138, 0xbf27a4f4, v102, -v138
	v_fmamk_f32 v177, v102, 0xbe11bafb, v139
	v_fma_f32 v139, 0xbe11bafb, v102, -v139
	v_fmamk_f32 v178, v102, 0x3f575c64, v140
	v_fma_f32 v140, 0x3f575c64, v102, -v140
	v_fmamk_f32 v179, v102, 0xbf75a155, v141
	v_fma_f32 v141, 0xbf75a155, v102, -v141
	;; [unrolled: 20-line block ×3, first 2 shown]
	v_fmamk_f32 v188, v110, 0xbe11bafb, v108
	v_fma_f32 v108, 0xbe11bafb, v110, -v108
	v_add_f32_e32 v44, v32, v150
	v_add_f32_e32 v99, v33, v151
	;; [unrolled: 1-line block ×112, first 2 shown]
	ds_write2_b64 v75, v[48:49], v[36:37] offset1:48
	ds_write2_b64 v75, v[38:39], v[40:41] offset0:96 offset1:144
	ds_write2_b64 v75, v[42:43], v[46:47] offset0:192 offset1:240
	;; [unrolled: 1-line block ×4, first 2 shown]
	ds_write_b64 v75, v[28:29] offset:3840
	s_waitcnt lgkmcnt(0)
	s_barrier
	buffer_gl0_inv
	global_load_dwordx2 v[42:43], v[90:91], off offset:128
	v_add_co_u32 v36, s1, 0x1080, v52
	v_add_co_ci_u32_e64 v37, s1, 0, v53, s1
	v_add_co_u32 v38, s1, 0x1800, v52
	v_add_co_ci_u32_e64 v39, s1, 0, v53, s1
	s_clause 0x6
	global_load_dwordx2 v[50:51], v[36:37], off offset:384
	global_load_dwordx2 v[94:95], v[36:37], off offset:1056
	;; [unrolled: 1-line block ×7, first 2 shown]
	ds_read2_b64 v[38:41], v75 offset1:48
	v_add_nc_u32_e32 v106, 0x400, v75
	s_waitcnt vmcnt(7) lgkmcnt(0)
	v_mul_f32_e32 v45, v39, v43
	v_mul_f32_e32 v44, v38, v43
	v_fma_f32 v43, v38, v42, -v45
	v_fmac_f32_e32 v44, v39, v42
	s_waitcnt vmcnt(6)
	v_mul_f32_e32 v38, v41, v51
	v_mul_f32_e32 v39, v40, v51
	ds_write_b64 v75, v[43:44]
	ds_read2_b64 v[42:45], v75 offset0:132 offset1:180
	ds_read2_b64 v[46:49], v89 offset0:8 offset1:56
	;; [unrolled: 1-line block ×3, first 2 shown]
	v_fma_f32 v38, v40, v50, -v38
	v_fmac_f32_e32 v39, v41, v50
	s_waitcnt vmcnt(5) lgkmcnt(2)
	v_mul_f32_e32 v40, v43, v95
	v_mul_f32_e32 v41, v42, v95
	s_waitcnt vmcnt(4) lgkmcnt(1)
	v_mul_f32_e32 v50, v47, v97
	v_mul_f32_e32 v51, v46, v97
	s_waitcnt vmcnt(2)
	v_mul_f32_e32 v108, v45, v101
	v_mul_f32_e32 v97, v44, v101
	s_waitcnt lgkmcnt(0)
	v_mul_f32_e32 v107, v91, v99
	v_mul_f32_e32 v95, v90, v99
	s_waitcnt vmcnt(0)
	v_mul_f32_e32 v109, v49, v105
	v_mul_f32_e32 v99, v48, v105
	;; [unrolled: 1-line block ×4, first 2 shown]
	v_fma_f32 v40, v42, v94, -v40
	v_fmac_f32_e32 v41, v43, v94
	v_fma_f32 v50, v46, v96, -v50
	v_fmac_f32_e32 v51, v47, v96
	;; [unrolled: 2-line block ×6, first 2 shown]
	ds_write2_b64 v75, v[38:39], v[40:41] offset0:48 offset1:132
	ds_write2_b64 v106, v[96:97], v[50:51] offset0:52 offset1:136
	;; [unrolled: 1-line block ×3, first 2 shown]
	ds_write_b64 v75, v[100:101] offset:3552
	s_and_saveexec_b32 s2, vcc_lo
	s_cbranch_execz .LBB0_17
; %bb.16:
	s_clause 0x1
	global_load_dwordx2 v[40:41], v[36:37], off offset:768
	global_load_dwordx2 v[42:43], v[36:37], off offset:1824
	v_add_co_u32 v36, s1, 0x800, v36
	v_add_co_ci_u32_e64 v37, s1, 0, v37, s1
	s_clause 0x1
	global_load_dwordx2 v[44:45], v[36:37], off offset:832
	global_load_dwordx2 v[46:47], v[36:37], off offset:1888
	ds_read2_b64 v[36:39], v75 offset0:96 offset1:228
	s_waitcnt vmcnt(3) lgkmcnt(0)
	v_mul_f32_e32 v48, v37, v41
	v_mul_f32_e32 v49, v36, v41
	s_waitcnt vmcnt(2)
	v_mul_f32_e32 v50, v39, v43
	v_mul_f32_e32 v41, v38, v43
	v_fma_f32 v48, v36, v40, -v48
	v_fmac_f32_e32 v49, v37, v40
	v_fma_f32 v40, v38, v42, -v50
	v_fmac_f32_e32 v41, v39, v42
	ds_write2_b64 v75, v[48:49], v[40:41] offset0:96 offset1:228
	ds_read2_b64 v[36:39], v89 offset0:104 offset1:236
	s_waitcnt vmcnt(1) lgkmcnt(0)
	v_mul_f32_e32 v40, v37, v45
	v_mul_f32_e32 v41, v36, v45
	s_waitcnt vmcnt(0)
	v_mul_f32_e32 v42, v39, v47
	v_mul_f32_e32 v43, v38, v47
	v_fma_f32 v40, v36, v44, -v40
	v_fmac_f32_e32 v41, v37, v44
	v_fma_f32 v42, v38, v46, -v42
	v_fmac_f32_e32 v43, v39, v46
	ds_write2_b64 v89, v[40:41], v[42:43] offset0:104 offset1:236
.LBB0_17:
	s_or_b32 exec_lo, exec_lo, s2
	s_waitcnt lgkmcnt(0)
	s_barrier
	buffer_gl0_inv
	ds_read2_b64 v[36:39], v75 offset1:48
	ds_read2_b64 v[40:43], v75 offset0:132 offset1:180
	ds_read2_b64 v[48:51], v89 offset0:8 offset1:56
	;; [unrolled: 1-line block ×3, first 2 shown]
	s_and_saveexec_b32 s1, vcc_lo
	s_cbranch_execz .LBB0_19
; %bb.18:
	v_add_nc_u32_e32 v28, 0x800, v75
	ds_read2_b64 v[32:35], v75 offset0:96 offset1:228
	ds_read2_b64 v[28:31], v28 offset0:104 offset1:236
.LBB0_19:
	s_or_b32 exec_lo, exec_lo, s1
	s_waitcnt lgkmcnt(1)
	v_sub_f32_e32 v48, v36, v48
	s_waitcnt lgkmcnt(0)
	v_sub_f32_e32 v89, v40, v44
	v_sub_f32_e32 v50, v38, v50
	;; [unrolled: 1-line block ×4, first 2 shown]
	v_fma_f32 v36, v36, 2.0, -v48
	v_fma_f32 v40, v40, 2.0, -v89
	;; [unrolled: 1-line block ×4, first 2 shown]
	v_add_f32_e32 v46, v48, v90
	v_sub_f32_e32 v49, v37, v49
	v_sub_f32_e32 v44, v36, v40
	v_fma_f32 v41, v41, 2.0, -v90
	v_sub_f32_e32 v40, v93, v38
	v_fma_f32 v38, v48, 2.0, -v46
	v_sub_f32_e32 v90, v32, v28
	v_sub_f32_e32 v28, v34, v30
	;; [unrolled: 1-line block ×3, first 2 shown]
	v_fma_f32 v48, v93, 2.0, -v40
	v_sub_f32_e32 v93, v33, v29
	v_sub_f32_e32 v29, v35, v31
	v_fma_f32 v37, v37, 2.0, -v49
	v_sub_f32_e32 v92, v43, v47
	v_fma_f32 v30, v32, 2.0, -v90
	v_fma_f32 v31, v33, 2.0, -v93
	;; [unrolled: 1-line block ×4, first 2 shown]
	v_sub_f32_e32 v45, v37, v41
	v_sub_f32_e32 v47, v49, v89
	v_fma_f32 v89, v39, 2.0, -v51
	v_fma_f32 v41, v43, 2.0, -v92
	v_sub_f32_e32 v32, v30, v32
	v_sub_f32_e32 v33, v31, v33
	v_add_f32_e32 v34, v29, v90
	v_sub_f32_e32 v35, v93, v28
	v_sub_f32_e32 v41, v89, v41
	v_add_f32_e32 v42, v50, v92
	v_sub_f32_e32 v43, v51, v91
	v_fma_f32 v36, v36, 2.0, -v44
	v_fma_f32 v37, v37, 2.0, -v45
	;; [unrolled: 1-line block ×10, first 2 shown]
	s_barrier
	buffer_gl0_inv
	ds_write_b128 v82, v[36:39]
	ds_write_b128 v82, v[44:47] offset:16
	ds_write_b128 v83, v[48:51]
	ds_write_b128 v83, v[40:43] offset:16
	s_and_saveexec_b32 s1, vcc_lo
	s_cbranch_execz .LBB0_21
; %bb.20:
	ds_write_b128 v81, v[28:31]
	ds_write_b128 v81, v[32:35] offset:16
.LBB0_21:
	s_or_b32 exec_lo, exec_lo, s1
	v_add_nc_u32_e32 v81, 0x800, v75
	s_waitcnt lgkmcnt(0)
	s_barrier
	buffer_gl0_inv
	ds_read2_b64 v[36:39], v75 offset1:48
	ds_read2_b64 v[48:51], v75 offset0:132 offset1:180
	ds_read2_b64 v[44:47], v81 offset0:8 offset1:56
	;; [unrolled: 1-line block ×3, first 2 shown]
	s_and_saveexec_b32 s1, vcc_lo
	s_cbranch_execz .LBB0_23
; %bb.22:
	ds_read2_b64 v[28:31], v75 offset0:96 offset1:228
	ds_read2_b64 v[32:35], v81 offset0:104 offset1:236
.LBB0_23:
	s_or_b32 exec_lo, exec_lo, s1
	s_waitcnt lgkmcnt(2)
	v_mul_f32_e32 v81, v5, v49
	v_mul_f32_e32 v82, v5, v48
	s_waitcnt lgkmcnt(0)
	v_mul_f32_e32 v90, v74, v41
	v_mul_f32_e32 v83, v7, v45
	;; [unrolled: 1-line block ×3, first 2 shown]
	v_fmac_f32_e32 v81, v4, v48
	v_mul_f32_e32 v48, v74, v40
	v_fma_f32 v49, v4, v49, -v82
	v_fmac_f32_e32 v90, v73, v40
	v_mul_f32_e32 v82, v7, v46
	v_fmac_f32_e32 v83, v6, v44
	v_fma_f32 v40, v73, v41, -v48
	v_mul_f32_e32 v41, v5, v51
	v_mul_f32_e32 v48, v7, v47
	v_fma_f32 v44, v6, v45, -v89
	v_mul_f32_e32 v45, v5, v50
	v_mul_f32_e32 v89, v74, v43
	v_fmac_f32_e32 v41, v4, v50
	v_fmac_f32_e32 v48, v6, v46
	v_fma_f32 v46, v6, v47, -v82
	v_mul_f32_e32 v47, v5, v31
	v_mul_f32_e32 v5, v5, v30
	;; [unrolled: 1-line block ×4, first 2 shown]
	v_fma_f32 v45, v4, v51, -v45
	v_fmac_f32_e32 v89, v73, v42
	v_mul_f32_e32 v42, v74, v42
	v_fmac_f32_e32 v47, v4, v30
	v_fma_f32 v4, v4, v31, -v5
	v_fmac_f32_e32 v50, v6, v32
	v_fma_f32 v5, v6, v33, -v7
	v_sub_f32_e32 v6, v36, v83
	v_fma_f32 v42, v73, v43, -v42
	v_mul_f32_e32 v7, v74, v35
	v_sub_f32_e32 v33, v81, v90
	v_sub_f32_e32 v43, v37, v44
	v_fma_f32 v32, v36, 2.0, -v6
	v_sub_f32_e32 v36, v49, v40
	v_mul_f32_e32 v30, v74, v34
	v_fma_f32 v31, v81, 2.0, -v33
	v_fmac_f32_e32 v7, v73, v34
	v_fma_f32 v40, v37, 2.0, -v43
	v_fma_f32 v34, v49, 2.0, -v36
	v_sub_f32_e32 v48, v38, v48
	v_sub_f32_e32 v49, v39, v46
	;; [unrolled: 1-line block ×4, first 2 shown]
	v_fma_f32 v44, v73, v35, -v30
	v_sub_f32_e32 v30, v32, v31
	v_sub_f32_e32 v31, v40, v34
	v_fma_f32 v51, v38, 2.0, -v48
	v_fma_f32 v73, v39, 2.0, -v49
	;; [unrolled: 1-line block ×4, first 2 shown]
	v_add_f32_e32 v34, v6, v36
	v_sub_f32_e32 v35, v43, v33
	v_add_f32_e32 v42, v48, v42
	v_sub_f32_e32 v36, v51, v37
	v_sub_f32_e32 v37, v73, v38
	v_fma_f32 v38, v6, 2.0, -v34
	v_sub_f32_e32 v50, v28, v50
	v_sub_f32_e32 v5, v29, v5
	;; [unrolled: 1-line block ×4, first 2 shown]
	v_fma_f32 v39, v43, 2.0, -v35
	v_sub_f32_e32 v43, v49, v46
	v_fma_f32 v46, v48, 2.0, -v42
	v_fma_f32 v28, v28, 2.0, -v50
	;; [unrolled: 1-line block ×5, first 2 shown]
	v_add_f32_e32 v44, v50, v7
	v_sub_f32_e32 v45, v5, v6
	v_fma_f32 v32, v32, 2.0, -v30
	v_fma_f32 v33, v40, 2.0, -v31
	v_sub_f32_e32 v6, v28, v48
	v_sub_f32_e32 v7, v29, v4
	v_fma_f32 v4, v50, 2.0, -v44
	v_fma_f32 v5, v5, 2.0, -v45
	;; [unrolled: 1-line block ×5, first 2 shown]
	s_barrier
	buffer_gl0_inv
	ds_write2_b64 v84, v[32:33], v[38:39] offset1:4
	ds_write2_b64 v84, v[30:31], v[34:35] offset0:8 offset1:12
	ds_write2_b64 v80, v[40:41], v[46:47] offset1:4
	ds_write2_b64 v80, v[36:37], v[42:43] offset0:8 offset1:12
	s_and_saveexec_b32 s1, vcc_lo
	s_cbranch_execz .LBB0_25
; %bb.24:
	v_and_or_b32 v30, 0x3f0, v79, v77
	v_fma_f32 v29, v29, 2.0, -v7
	v_fma_f32 v28, v28, 2.0, -v6
	v_lshlrev_b32_e32 v30, 3, v30
	ds_write2_b64 v30, v[28:29], v[4:5] offset1:4
	ds_write2_b64 v30, v[6:7], v[44:45] offset0:8 offset1:12
.LBB0_25:
	s_or_b32 exec_lo, exec_lo, s1
	v_add_nc_u32_e32 v36, 0x800, v75
	v_add_nc_u32_e32 v48, 0x400, v75
	s_waitcnt lgkmcnt(0)
	s_barrier
	buffer_gl0_inv
	ds_read2_b64 v[32:35], v75 offset1:48
	ds_read2_b64 v[28:31], v75 offset0:96 offset1:176
	ds_read2_b64 v[40:43], v36 offset0:96 offset1:144
	;; [unrolled: 1-line block ×3, first 2 shown]
	ds_read_b64 v[46:47], v75 offset:3584
	s_and_saveexec_b32 s1, s0
	s_cbranch_execz .LBB0_27
; %bb.26:
	ds_read2_b64 v[4:7], v48 offset0:16 offset1:192
	ds_read_b64 v[44:45], v75 offset:3968
.LBB0_27:
	s_or_b32 exec_lo, exec_lo, s1
	s_waitcnt lgkmcnt(3)
	v_mul_f32_e32 v48, v1, v31
	v_mul_f32_e32 v49, v1, v30
	s_waitcnt lgkmcnt(2)
	v_mul_f32_e32 v50, v3, v41
	v_mul_f32_e32 v51, v3, v40
	s_waitcnt lgkmcnt(1)
	v_mul_f32_e32 v73, v1, v39
	v_fmac_f32_e32 v48, v0, v30
	v_fma_f32 v31, v0, v31, -v49
	v_mul_f32_e32 v49, v1, v37
	v_mul_f32_e32 v30, v1, v36
	v_fmac_f32_e32 v50, v2, v40
	v_fma_f32 v40, v2, v41, -v51
	v_mul_f32_e32 v41, v3, v43
	v_fmac_f32_e32 v49, v0, v36
	v_mul_f32_e32 v36, v3, v42
	v_fma_f32 v51, v0, v37, -v30
	v_mul_f32_e32 v30, v1, v38
	v_fmac_f32_e32 v41, v2, v42
	v_fmac_f32_e32 v73, v0, v38
	v_fma_f32 v42, v2, v43, -v36
	s_waitcnt lgkmcnt(0)
	v_mul_f32_e32 v36, v3, v46
	v_fma_f32 v74, v0, v39, -v30
	v_add_f32_e32 v30, v48, v50
	v_mul_f32_e32 v43, v3, v47
	v_add_f32_e32 v37, v32, v48
	v_fma_f32 v47, v2, v47, -v36
	v_add_f32_e32 v36, v31, v40
	v_fma_f32 v30, -0.5, v30, v32
	v_sub_f32_e32 v38, v31, v40
	v_add_f32_e32 v32, v37, v50
	v_add_f32_e32 v37, v33, v31
	v_fma_f32 v31, -0.5, v36, v33
	v_sub_f32_e32 v39, v48, v50
	v_fmamk_f32 v36, v38, 0xbf5db3d7, v30
	v_fmac_f32_e32 v30, 0x3f5db3d7, v38
	v_add_f32_e32 v38, v49, v41
	v_fmac_f32_e32 v43, v2, v46
	v_add_f32_e32 v33, v37, v40
	v_fmamk_f32 v37, v39, 0x3f5db3d7, v31
	v_add_f32_e32 v40, v34, v49
	v_fmac_f32_e32 v31, 0xbf5db3d7, v39
	v_add_f32_e32 v39, v51, v42
	v_fma_f32 v34, -0.5, v38, v34
	v_sub_f32_e32 v46, v51, v42
	v_add_f32_e32 v48, v35, v51
	v_add_f32_e32 v38, v40, v41
	v_fmac_f32_e32 v35, -0.5, v39
	v_sub_f32_e32 v49, v49, v41
	v_fmamk_f32 v40, v46, 0xbf5db3d7, v34
	v_fmac_f32_e32 v34, 0x3f5db3d7, v46
	v_add_f32_e32 v39, v48, v42
	v_add_f32_e32 v42, v73, v43
	v_add_f32_e32 v46, v74, v47
	v_fmamk_f32 v41, v49, 0x3f5db3d7, v35
	v_fmac_f32_e32 v35, 0xbf5db3d7, v49
	v_add_f32_e32 v48, v28, v73
	v_fma_f32 v28, -0.5, v42, v28
	v_sub_f32_e32 v49, v74, v47
	v_add_f32_e32 v50, v29, v74
	v_fmac_f32_e32 v29, -0.5, v46
	v_sub_f32_e32 v51, v73, v43
	v_add_f32_e32 v42, v48, v43
	v_fmamk_f32 v46, v49, 0xbf5db3d7, v28
	v_add_f32_e32 v43, v50, v47
	v_fmac_f32_e32 v28, 0x3f5db3d7, v49
	v_fmamk_f32 v47, v51, 0x3f5db3d7, v29
	v_fmac_f32_e32 v29, 0xbf5db3d7, v51
	s_barrier
	buffer_gl0_inv
	ds_write2_b64 v88, v[32:33], v[36:37] offset1:16
	ds_write_b64 v88, v[30:31] offset:256
	ds_write2_b64 v87, v[38:39], v[40:41] offset1:16
	ds_write_b64 v87, v[34:35] offset:256
	;; [unrolled: 2-line block ×3, first 2 shown]
	s_and_saveexec_b32 s1, s0
	s_cbranch_execz .LBB0_29
; %bb.28:
	v_mul_f32_e32 v28, v1, v7
	v_mul_f32_e32 v1, v1, v6
	;; [unrolled: 1-line block ×4, first 2 shown]
	v_fmac_f32_e32 v28, v0, v6
	v_fma_f32 v0, v0, v7, -v1
	v_fma_f32 v3, v2, v45, -v29
	v_fmac_f32_e32 v30, v2, v44
	v_mul_u32_u24_e32 v2, 48, v85
	v_add_f32_e32 v31, v0, v5
	v_add_f32_e32 v1, v3, v0
	;; [unrolled: 1-line block ×3, first 2 shown]
	v_sub_f32_e32 v7, v28, v30
	v_sub_f32_e32 v29, v0, v3
	v_add_f32_e32 v3, v3, v31
	v_fma_f32 v1, -0.5, v1, v5
	v_fma_f32 v0, -0.5, v6, v4
	v_add_f32_e32 v6, v4, v28
	v_or_b32_e32 v28, v2, v78
	v_fmamk_f32 v5, v7, 0x3f5db3d7, v1
	v_fmamk_f32 v4, v29, 0xbf5db3d7, v0
	v_add_f32_e32 v2, v30, v6
	v_lshlrev_b32_e32 v6, 3, v28
	v_fmac_f32_e32 v1, 0xbf5db3d7, v7
	v_fmac_f32_e32 v0, 0x3f5db3d7, v29
	ds_write2_b64 v6, v[2:3], v[4:5] offset1:16
	ds_write_b64 v6, v[0:1] offset:256
.LBB0_29:
	s_or_b32 exec_lo, exec_lo, s1
	s_waitcnt lgkmcnt(0)
	s_barrier
	buffer_gl0_inv
	ds_read2_b64 v[3:6], v75 offset1:48
	ds_read2_b64 v[28:31], v75 offset0:96 offset1:144
	ds_read2_b64 v[32:35], v75 offset0:192 offset1:240
	ds_read_b64 v[0:1], v75 offset:3840
	v_add_nc_u32_e32 v2, 0x800, v75
	ds_read2_b64 v[36:39], v2 offset0:32 offset1:80
	ds_read2_b64 v[40:43], v2 offset0:128 offset1:176
	s_mov_b32 s2, 0xf07c1f08
	s_mov_b32 s3, 0x3f5f07c1
	s_mul_hi_u32 s1, s8, 0x84
	s_waitcnt lgkmcnt(5)
	v_mul_f32_e32 v7, v25, v6
	v_mul_f32_e32 v25, v25, v5
	s_waitcnt lgkmcnt(4)
	v_mul_f32_e32 v44, v27, v29
	v_mul_f32_e32 v27, v27, v28
	;; [unrolled: 1-line block ×4, first 2 shown]
	s_waitcnt lgkmcnt(3)
	v_mul_f32_e32 v46, v23, v33
	v_mul_f32_e32 v23, v23, v32
	v_fmac_f32_e32 v7, v24, v5
	v_fma_f32 v5, v24, v6, -v25
	v_fmac_f32_e32 v44, v26, v28
	v_fma_f32 v6, v26, v29, -v27
	;; [unrolled: 2-line block ×4, first 2 shown]
	v_add_f32_e32 v22, v3, v7
	v_add_f32_e32 v23, v4, v5
	v_mul_f32_e32 v47, v13, v35
	v_mul_f32_e32 v13, v13, v34
	s_waitcnt lgkmcnt(2)
	v_mul_f32_e32 v48, v19, v1
	v_add_f32_e32 v22, v22, v44
	v_add_f32_e32 v23, v23, v6
	v_fmac_f32_e32 v47, v12, v34
	v_fma_f32 v12, v12, v35, -v13
	s_waitcnt lgkmcnt(1)
	v_mul_f32_e32 v13, v15, v37
	v_add_f32_e32 v22, v22, v45
	v_add_f32_e32 v23, v23, v20
	v_mul_f32_e32 v15, v15, v36
	v_mul_f32_e32 v19, v19, v0
	;; [unrolled: 1-line block ×3, first 2 shown]
	v_add_f32_e32 v22, v22, v46
	v_add_f32_e32 v23, v23, v21
	v_mul_f32_e32 v9, v9, v38
	v_fmac_f32_e32 v13, v14, v36
	v_fma_f32 v14, v14, v37, -v15
	v_add_f32_e32 v15, v22, v47
	v_add_f32_e32 v22, v23, v12
	s_waitcnt lgkmcnt(0)
	v_mul_f32_e32 v25, v11, v41
	v_mul_f32_e32 v11, v11, v40
	v_fmac_f32_e32 v24, v8, v38
	v_fma_f32 v8, v8, v39, -v9
	v_add_f32_e32 v9, v22, v14
	v_fma_f32 v1, v18, v1, -v19
	v_mul_f32_e32 v26, v17, v43
	v_mul_f32_e32 v17, v17, v42
	v_fmac_f32_e32 v48, v18, v0
	v_fmac_f32_e32 v25, v10, v40
	v_fma_f32 v10, v10, v41, -v11
	v_add_f32_e32 v9, v9, v8
	v_sub_f32_e32 v11, v5, v1
	v_add_f32_e32 v0, v15, v13
	v_fmac_f32_e32 v26, v16, v42
	v_fma_f32 v15, v16, v43, -v17
	v_add_f32_e32 v9, v9, v10
	v_add_f32_e32 v16, v7, v48
	v_mul_f32_e32 v17, 0xbf0a6770, v11
	v_add_f32_e32 v5, v5, v1
	v_add_f32_e32 v0, v0, v24
	;; [unrolled: 1-line block ×3, first 2 shown]
	v_sub_f32_e32 v7, v7, v48
	v_fmamk_f32 v18, v16, 0x3f575c64, v17
	v_mul_f32_e32 v19, 0x3f575c64, v5
	v_mul_f32_e32 v22, 0xbf68dda4, v11
	;; [unrolled: 1-line block ×9, first 2 shown]
	v_sub_f32_e32 v39, v6, v15
	v_add_f32_e32 v6, v6, v15
	v_add_f32_e32 v0, v0, v25
	;; [unrolled: 1-line block ×4, first 2 shown]
	v_fmamk_f32 v18, v7, 0x3f0a6770, v19
	v_fma_f32 v17, 0x3f575c64, v16, -v17
	v_fmac_f32_e32 v19, 0xbf0a6770, v7
	v_fmamk_f32 v27, v16, 0x3ed4b147, v22
	v_fmamk_f32 v28, v7, 0x3f68dda4, v23
	v_fma_f32 v22, 0x3ed4b147, v16, -v22
	v_fmac_f32_e32 v23, 0xbf68dda4, v7
	v_fmamk_f32 v30, v16, 0xbe11bafb, v29
	;; [unrolled: 4-line block ×4, first 2 shown]
	v_fmamk_f32 v38, v7, 0x3e903f40, v5
	v_add_f32_e32 v40, v44, v26
	v_mul_f32_e32 v15, 0xbf68dda4, v39
	v_fma_f32 v11, 0xbf75a155, v16, -v11
	v_fmac_f32_e32 v5, 0xbe903f40, v7
	v_sub_f32_e32 v7, v44, v26
	v_mul_f32_e32 v16, 0x3ed4b147, v6
	v_add_f32_e32 v0, v0, v26
	v_add_f32_e32 v18, v4, v18
	;; [unrolled: 1-line block ×18, first 2 shown]
	v_fmamk_f32 v26, v40, 0x3ed4b147, v15
	v_add_f32_e32 v3, v3, v11
	v_add_f32_e32 v4, v4, v5
	v_mul_f32_e32 v5, 0xbf4178ce, v39
	v_fmamk_f32 v11, v7, 0x3f68dda4, v16
	v_add_f32_e32 v9, v26, v9
	v_fma_f32 v15, 0x3ed4b147, v40, -v15
	v_fmac_f32_e32 v16, 0xbf68dda4, v7
	v_fmamk_f32 v26, v40, 0xbf27a4f4, v5
	v_add_f32_e32 v11, v11, v18
	v_mul_f32_e32 v18, 0xbf27a4f4, v6
	v_add_f32_e32 v15, v15, v17
	v_add_f32_e32 v16, v16, v19
	;; [unrolled: 1-line block ×3, first 2 shown]
	v_mul_f32_e32 v19, 0x3e903f40, v39
	v_fmamk_f32 v26, v7, 0x3f4178ce, v18
	v_fma_f32 v5, 0xbf27a4f4, v40, -v5
	v_mul_f32_e32 v27, 0xbf75a155, v6
	v_fmac_f32_e32 v18, 0xbf4178ce, v7
	v_fmamk_f32 v41, v40, 0xbf75a155, v19
	v_add_f32_e32 v26, v26, v28
	v_add_f32_e32 v5, v5, v22
	v_fmamk_f32 v22, v7, 0xbe903f40, v27
	v_mul_f32_e32 v28, 0x3f7d64f0, v39
	v_fma_f32 v19, 0xbf75a155, v40, -v19
	v_add_f32_e32 v18, v18, v23
	v_add_f32_e32 v23, v41, v30
	;; [unrolled: 1-line block ×3, first 2 shown]
	v_fmamk_f32 v33, v40, 0xbe11bafb, v28
	v_add_f32_e32 v19, v19, v29
	v_mul_f32_e32 v29, 0x3f0a6770, v39
	v_fmac_f32_e32 v27, 0x3e903f40, v7
	v_mul_f32_e32 v30, 0xbe11bafb, v6
	v_add_f32_e32 v33, v33, v34
	v_fma_f32 v28, 0xbe11bafb, v40, -v28
	v_fmamk_f32 v34, v40, 0x3f575c64, v29
	v_add_f32_e32 v27, v27, v31
	v_fmamk_f32 v31, v7, 0xbf7d64f0, v30
	v_fmac_f32_e32 v30, 0x3f7d64f0, v7
	v_mul_f32_e32 v6, 0x3f575c64, v6
	v_add_f32_e32 v28, v28, v32
	v_add_f32_e32 v32, v34, v37
	v_sub_f32_e32 v34, v20, v10
	v_add_f32_e32 v10, v20, v10
	v_add_f32_e32 v31, v31, v36
	;; [unrolled: 1-line block ×3, first 2 shown]
	v_fmamk_f32 v35, v7, 0xbf0a6770, v6
	v_fma_f32 v29, 0x3f575c64, v40, -v29
	v_add_f32_e32 v20, v45, v25
	v_mul_f32_e32 v36, 0xbf7d64f0, v34
	v_fmac_f32_e32 v6, 0x3f0a6770, v7
	v_sub_f32_e32 v7, v45, v25
	v_mul_f32_e32 v25, 0xbe11bafb, v10
	v_add_f32_e32 v3, v29, v3
	v_fmamk_f32 v37, v20, 0xbe11bafb, v36
	v_add_f32_e32 v4, v6, v4
	v_mul_f32_e32 v29, 0x3e903f40, v34
	v_fmamk_f32 v6, v7, 0x3f7d64f0, v25
	v_fmac_f32_e32 v25, 0xbf7d64f0, v7
	v_add_f32_e32 v9, v37, v9
	v_fma_f32 v36, 0xbe11bafb, v20, -v36
	v_mul_f32_e32 v37, 0xbf75a155, v10
	v_add_f32_e32 v6, v6, v11
	v_fmamk_f32 v11, v20, 0xbf75a155, v29
	v_add_f32_e32 v16, v25, v16
	v_mul_f32_e32 v25, 0x3f68dda4, v34
	v_add_f32_e32 v35, v35, v38
	v_add_f32_e32 v15, v36, v15
	;; [unrolled: 1-line block ×3, first 2 shown]
	v_fmamk_f32 v17, v7, 0xbe903f40, v37
	v_fma_f32 v29, 0xbf75a155, v20, -v29
	v_fmamk_f32 v36, v20, 0x3ed4b147, v25
	v_mul_f32_e32 v38, 0x3ed4b147, v10
	v_fma_f32 v25, 0x3ed4b147, v20, -v25
	v_add_f32_e32 v17, v17, v26
	v_add_f32_e32 v5, v29, v5
	;; [unrolled: 1-line block ×3, first 2 shown]
	v_fmamk_f32 v26, v7, 0xbf68dda4, v38
	v_mul_f32_e32 v29, 0xbf0a6770, v34
	v_fmac_f32_e32 v38, 0x3f68dda4, v7
	v_mul_f32_e32 v36, 0x3f575c64, v10
	v_add_f32_e32 v19, v25, v19
	v_add_f32_e32 v22, v26, v22
	v_fmamk_f32 v26, v20, 0x3f575c64, v29
	v_add_f32_e32 v25, v38, v27
	v_fmamk_f32 v27, v7, 0x3f0a6770, v36
	v_mul_f32_e32 v34, 0xbf4178ce, v34
	v_fma_f32 v29, 0x3f575c64, v20, -v29
	v_fmac_f32_e32 v36, 0xbf0a6770, v7
	v_mul_f32_e32 v10, 0xbf27a4f4, v10
	v_add_f32_e32 v27, v27, v31
	v_fmamk_f32 v31, v20, 0xbf27a4f4, v34
	v_add_f32_e32 v28, v29, v28
	v_add_f32_e32 v29, v36, v30
	v_sub_f32_e32 v30, v21, v8
	v_add_f32_e32 v8, v21, v8
	v_fmac_f32_e32 v37, 0x3e903f40, v7
	v_add_f32_e32 v26, v26, v33
	v_add_f32_e32 v31, v31, v32
	v_fmamk_f32 v32, v7, 0x3f4178ce, v10
	v_add_f32_e32 v33, v46, v24
	v_fmac_f32_e32 v10, 0xbf4178ce, v7
	v_sub_f32_e32 v7, v46, v24
	v_mul_f32_e32 v24, 0xbf27a4f4, v8
	v_mul_f32_e32 v21, 0xbf4178ce, v30
	v_fma_f32 v20, 0xbf27a4f4, v20, -v34
	v_add_f32_e32 v4, v10, v4
	v_add_f32_e32 v18, v37, v18
	v_fmamk_f32 v10, v7, 0x3f4178ce, v24
	v_fmamk_f32 v34, v33, 0xbf27a4f4, v21
	v_add_f32_e32 v3, v20, v3
	v_mul_f32_e32 v20, 0x3f7d64f0, v30
	v_fma_f32 v21, 0xbf27a4f4, v33, -v21
	v_fmac_f32_e32 v24, 0xbf4178ce, v7
	v_add_f32_e32 v6, v10, v6
	v_mul_f32_e32 v10, 0xbe11bafb, v8
	v_add_f32_e32 v9, v34, v9
	v_fmamk_f32 v34, v33, 0xbe11bafb, v20
	v_add_f32_e32 v15, v21, v15
	v_add_f32_e32 v16, v24, v16
	v_mul_f32_e32 v21, 0xbf0a6770, v30
	v_fmamk_f32 v24, v7, 0xbf7d64f0, v10
	v_add_f32_e32 v11, v34, v11
	v_fma_f32 v20, 0xbe11bafb, v33, -v20
	v_fmac_f32_e32 v10, 0x3f7d64f0, v7
	v_fmamk_f32 v34, v33, 0x3f575c64, v21
	v_add_f32_e32 v17, v24, v17
	v_mul_f32_e32 v24, 0x3f575c64, v8
	v_add_f32_e32 v20, v20, v5
	v_add_f32_e32 v10, v10, v18
	;; [unrolled: 1-line block ×3, first 2 shown]
	v_mul_f32_e32 v5, 0xbe903f40, v30
	v_fmamk_f32 v23, v7, 0x3f0a6770, v24
	v_fmac_f32_e32 v24, 0xbf0a6770, v7
	v_add_f32_e32 v32, v32, v35
	v_fma_f32 v21, 0x3f575c64, v33, -v21
	v_mul_f32_e32 v34, 0xbf75a155, v8
	v_fmamk_f32 v35, v33, 0xbf75a155, v5
	v_add_f32_e32 v22, v23, v22
	v_add_f32_e32 v23, v24, v25
	v_mul_f32_e32 v25, 0x3f68dda4, v30
	v_add_f32_e32 v19, v21, v19
	v_fmamk_f32 v21, v7, 0x3e903f40, v34
	v_add_f32_e32 v24, v35, v26
	v_mul_f32_e32 v8, 0x3ed4b147, v8
	v_fma_f32 v5, 0xbf75a155, v33, -v5
	v_fmamk_f32 v26, v33, 0x3ed4b147, v25
	v_sub_f32_e32 v30, v12, v14
	v_add_f32_e32 v21, v21, v27
	v_fmamk_f32 v27, v7, 0xbf68dda4, v8
	v_add_f32_e32 v28, v5, v28
	v_add_f32_e32 v26, v26, v31
	v_add_f32_e32 v31, v47, v13
	v_mul_f32_e32 v5, 0xbe903f40, v30
	v_add_f32_e32 v14, v12, v14
	v_fmac_f32_e32 v8, 0x3f68dda4, v7
	v_fmac_f32_e32 v34, 0xbe903f40, v7
	v_fma_f32 v12, 0x3ed4b147, v33, -v25
	v_sub_f32_e32 v25, v47, v13
	v_fmamk_f32 v7, v31, 0xbf75a155, v5
	v_mul_f32_e32 v13, 0xbf75a155, v14
	v_add_f32_e32 v33, v8, v4
	v_mul_f32_e32 v8, 0x3f0a6770, v30
	v_add_f32_e32 v27, v27, v32
	v_add_f32_e32 v32, v12, v3
	;; [unrolled: 1-line block ×3, first 2 shown]
	v_fmamk_f32 v4, v25, 0x3e903f40, v13
	v_fmac_f32_e32 v13, 0xbe903f40, v25
	v_fmamk_f32 v7, v31, 0x3f575c64, v8
	v_mul_f32_e32 v12, 0x3f575c64, v14
	v_fma_f32 v5, 0xbf75a155, v31, -v5
	v_add_f32_e32 v4, v4, v6
	v_add_f32_e32 v6, v13, v16
	;; [unrolled: 1-line block ×3, first 2 shown]
	v_fmamk_f32 v9, v25, 0xbf0a6770, v12
	v_fma_f32 v11, 0x3f575c64, v31, -v8
	v_mul_f32_e32 v13, 0xbf4178ce, v30
	v_add_f32_e32 v5, v5, v15
	v_mul_f32_e32 v15, 0x3f68dda4, v30
	v_add_f32_e32 v8, v9, v17
	v_add_f32_e32 v9, v11, v20
	v_fmamk_f32 v11, v31, 0xbf27a4f4, v13
	v_fma_f32 v13, 0xbf27a4f4, v31, -v13
	v_add_f32_e32 v29, v34, v29
	v_fmac_f32_e32 v12, 0x3f0a6770, v25
	v_mul_f32_e32 v34, 0xbf27a4f4, v14
	v_add_f32_e32 v11, v11, v18
	v_mul_f32_e32 v18, 0x3ed4b147, v14
	v_fmamk_f32 v16, v31, 0x3ed4b147, v15
	v_add_f32_e32 v13, v13, v19
	v_fma_f32 v19, 0x3ed4b147, v31, -v15
	v_mul_f32_e32 v20, 0xbf7d64f0, v30
	v_fmamk_f32 v17, v25, 0xbf68dda4, v18
	v_mul_f32_e32 v14, 0xbe11bafb, v14
	v_add_f32_e32 v10, v12, v10
	v_fmamk_f32 v12, v25, 0x3f4178ce, v34
	v_add_f32_e32 v15, v16, v24
	v_add_f32_e32 v16, v17, v21
	;; [unrolled: 1-line block ×3, first 2 shown]
	v_fmamk_f32 v19, v31, 0xbe11bafb, v20
	v_fmamk_f32 v21, v25, 0x3f7d64f0, v14
	v_add_f32_e32 v12, v12, v22
	v_fmac_f32_e32 v18, 0x3f68dda4, v25
	v_fma_f32 v22, 0xbe11bafb, v31, -v20
	v_fmac_f32_e32 v14, 0xbf7d64f0, v25
	v_fmac_f32_e32 v34, 0xbf4178ce, v25
	v_add_f32_e32 v0, v0, v48
	v_add_f32_e32 v19, v19, v26
	v_add_f32_e32 v20, v21, v27
	v_add_f32_e32 v18, v18, v29
	v_add_f32_e32 v21, v22, v32
	v_add_f32_e32 v22, v14, v33
	v_add_f32_e32 v14, v34, v23
	ds_write2_b64 v75, v[0:1], v[3:4] offset1:48
	ds_write2_b64 v75, v[7:8], v[11:12] offset0:96 offset1:144
	ds_write2_b64 v75, v[15:16], v[19:20] offset0:192 offset1:240
	;; [unrolled: 1-line block ×4, first 2 shown]
	ds_write_b64 v75, v[5:6] offset:3840
	s_waitcnt lgkmcnt(0)
	s_barrier
	buffer_gl0_inv
	ds_read2_b64 v[3:6], v75 offset1:48
	ds_read2_b64 v[7:10], v75 offset0:132 offset1:180
	ds_read2_b64 v[11:14], v2 offset0:8 offset1:56
	v_mad_u64_u32 v[19:20], null, s10, v58, 0
	v_mad_u64_u32 v[21:22], null, s8, v76, 0
	v_mov_b32_e32 v15, v20
	v_mad_u64_u32 v[15:16], null, s11, v58, v[15:16]
	v_mov_b32_e32 v16, v22
	s_waitcnt lgkmcnt(2)
	v_mul_f32_e32 v0, v68, v4
	v_mul_f32_e32 v1, v68, v3
	s_waitcnt lgkmcnt(1)
	v_mul_f32_e32 v17, v70, v8
	v_mul_f32_e32 v18, v70, v7
	s_waitcnt lgkmcnt(0)
	v_mul_f32_e32 v22, v72, v12
	v_fmac_f32_e32 v0, v67, v3
	v_fma_f32 v3, v67, v4, -v1
	v_fmac_f32_e32 v17, v69, v7
	v_mul_f32_e32 v20, v72, v11
	v_fma_f32 v18, v69, v8, -v18
	v_cvt_f64_f32_e32 v[0:1], v0
	v_cvt_f64_f32_e32 v[3:4], v3
	v_mad_u64_u32 v[7:8], null, s9, v76, v[16:17]
	v_fmac_f32_e32 v22, v71, v11
	v_fma_f32 v8, v71, v12, -v20
	v_cvt_f64_f32_e32 v[11:12], v17
	v_cvt_f64_f32_e32 v[23:24], v18
	v_mov_b32_e32 v20, v15
	ds_read2_b64 v[15:18], v2 offset0:140 offset1:188
	v_cvt_f64_f32_e32 v[25:26], v22
	v_cvt_f64_f32_e32 v[27:28], v8
	v_mov_b32_e32 v22, v7
	v_lshlrev_b64 v[7:8], 3, v[19:20]
	v_mul_f32_e32 v30, v66, v13
	v_mul_f32_e32 v29, v66, v14
	v_lshlrev_b64 v[19:20], 3, v[21:22]
	v_add_co_u32 v7, s0, s6, v7
	v_add_co_ci_u32_e64 v8, s0, s7, v8, s0
	v_mul_f64 v[0:1], v[0:1], s[2:3]
	v_mul_f64 v[3:4], v[3:4], s[2:3]
	v_fma_f32 v30, v65, v14, -v30
	v_fmac_f32_e32 v29, v65, v13
	s_waitcnt lgkmcnt(0)
	v_mul_f32_e32 v31, v64, v18
	v_mul_f32_e32 v32, v64, v17
	v_cvt_f64_f32_e32 v[13:14], v29
	v_mul_f64 v[21:22], v[27:28], s[2:3]
	v_mul_f32_e32 v27, v57, v10
	v_fmac_f32_e32 v31, v63, v17
	v_fma_f32 v32, v63, v18, -v32
	v_cvt_f64_f32_e32 v[17:18], v30
	v_fmac_f32_e32 v27, v56, v9
	v_mul_f32_e32 v9, v57, v9
	v_cvt_f64_f32_e32 v[29:30], v31
	v_cvt_f64_f32_e32 v[31:32], v32
	;; [unrolled: 1-line block ×3, first 2 shown]
	v_cvt_f32_f64_e32 v0, v[0:1]
	v_cvt_f32_f64_e32 v1, v[3:4]
	v_add_co_u32 v3, s0, v7, v19
	v_add_co_ci_u32_e64 v4, s0, v8, v20, s0
	v_mul_f64 v[7:8], v[11:12], s[2:3]
	v_mul_f64 v[11:12], v[23:24], s[2:3]
	v_mul_f32_e32 v23, v62, v16
	v_mul_f32_e32 v24, v62, v15
	v_mul_f64 v[19:20], v[25:26], s[2:3]
	v_mul_f32_e32 v25, v60, v6
	v_mul_f32_e32 v26, v60, v5
	v_fmac_f32_e32 v23, v61, v15
	v_fma_f32 v15, v61, v16, -v24
	v_fma_f32 v9, v56, v10, -v9
	v_fmac_f32_e32 v25, v59, v5
	v_fma_f32 v26, v59, v6, -v26
	v_cvt_f64_f32_e32 v[5:6], v23
	v_cvt_f64_f32_e32 v[15:16], v15
	;; [unrolled: 1-line block ×5, first 2 shown]
	s_mul_i32 s0, s9, 0x84
	v_mul_f64 v[17:18], v[17:18], s[2:3]
	s_add_i32 s1, s1, s0
	s_mul_i32 s0, s8, 0x84
	v_mul_f64 v[13:14], v[13:14], s[2:3]
	s_lshl_b64 s[4:5], s[0:1], 3
	v_cvt_f32_f64_e32 v7, v[7:8]
	v_cvt_f32_f64_e32 v8, v[11:12]
	v_add_co_u32 v11, s0, v3, s4
	v_cvt_f32_f64_e32 v19, v[19:20]
	v_cvt_f32_f64_e32 v20, v[21:22]
	v_add_co_ci_u32_e64 v12, s0, s5, v4, s0
	s_mul_i32 s1, s9, 0xfffffea4
	global_store_dwordx2 v[3:4], v[0:1], off
	v_mul_f64 v[5:6], v[5:6], s[2:3]
	v_mul_f64 v[15:16], v[15:16], s[2:3]
	;; [unrolled: 1-line block ×8, first 2 shown]
	v_add_co_u32 v31, s0, v11, s4
	v_add_co_ci_u32_e64 v32, s0, s5, v12, s0
	global_store_dwordx2 v[11:12], v[7:8], off
	global_store_dwordx2 v[31:32], v[19:20], off
	v_cvt_f32_f64_e32 v5, v[5:6]
	v_cvt_f32_f64_e32 v6, v[15:16]
	v_add_co_u32 v15, s0, v31, s4
	v_add_co_ci_u32_e64 v16, s0, s5, v32, s0
	s_mul_hi_u32 s0, s8, 0xfffffea4
	v_cvt_f32_f64_e32 v23, v[23:24]
	s_sub_i32 s0, s0, s8
	v_cvt_f32_f64_e32 v24, v[21:22]
	s_add_i32 s1, s0, s1
	s_mul_i32 s0, s8, 0xfffffea4
	v_cvt_f32_f64_e32 v22, v[9:10]
	s_lshl_b64 s[6:7], s[0:1], 3
	v_cvt_f32_f64_e32 v10, v[17:18]
	v_add_co_u32 v17, s0, v15, s6
	v_cvt_f32_f64_e32 v21, v[25:26]
	v_add_co_ci_u32_e64 v18, s0, s7, v16, s0
	v_cvt_f32_f64_e32 v9, v[13:14]
	v_cvt_f32_f64_e32 v13, v[27:28]
	;; [unrolled: 1-line block ×3, first 2 shown]
	v_add_co_u32 v3, s0, v17, s4
	v_add_co_ci_u32_e64 v4, s0, s5, v18, s0
	v_add_co_u32 v7, s0, v3, s4
	v_add_co_ci_u32_e64 v8, s0, s5, v4, s0
	;; [unrolled: 2-line block ×3, first 2 shown]
	global_store_dwordx2 v[15:16], v[5:6], off
	global_store_dwordx2 v[17:18], v[23:24], off
	;; [unrolled: 1-line block ×5, first 2 shown]
	s_and_b32 exec_lo, exec_lo, vcc_lo
	s_cbranch_execz .LBB0_31
; %bb.30:
	s_clause 0x3
	global_load_dwordx2 v[11:12], v[52:53], off offset:768
	global_load_dwordx2 v[13:14], v[52:53], off offset:1824
	;; [unrolled: 1-line block ×4, first 2 shown]
	ds_read2_b64 v[3:6], v75 offset0:96 offset1:228
	ds_read2_b64 v[7:10], v2 offset0:104 offset1:236
	v_add_co_u32 v0, vcc_lo, v0, s6
	v_add_co_ci_u32_e32 v1, vcc_lo, s7, v1, vcc_lo
	s_waitcnt vmcnt(3) lgkmcnt(1)
	v_mul_f32_e32 v2, v4, v12
	v_mul_f32_e32 v12, v3, v12
	s_waitcnt vmcnt(2)
	v_mul_f32_e32 v19, v6, v14
	v_mul_f32_e32 v14, v5, v14
	s_waitcnt vmcnt(1) lgkmcnt(0)
	v_mul_f32_e32 v20, v8, v16
	v_mul_f32_e32 v16, v7, v16
	s_waitcnt vmcnt(0)
	v_mul_f32_e32 v21, v10, v18
	v_mul_f32_e32 v18, v9, v18
	v_fmac_f32_e32 v2, v3, v11
	v_fma_f32 v4, v11, v4, -v12
	v_fmac_f32_e32 v19, v5, v13
	v_fma_f32 v11, v13, v6, -v14
	;; [unrolled: 2-line block ×4, first 2 shown]
	v_cvt_f64_f32_e32 v[2:3], v2
	v_cvt_f64_f32_e32 v[4:5], v4
	v_cvt_f64_f32_e32 v[6:7], v19
	v_cvt_f64_f32_e32 v[8:9], v11
	v_cvt_f64_f32_e32 v[10:11], v20
	v_cvt_f64_f32_e32 v[12:13], v12
	v_cvt_f64_f32_e32 v[14:15], v21
	v_cvt_f64_f32_e32 v[16:17], v16
	v_mul_f64 v[2:3], v[2:3], s[2:3]
	v_mul_f64 v[4:5], v[4:5], s[2:3]
	;; [unrolled: 1-line block ×8, first 2 shown]
	v_cvt_f32_f64_e32 v2, v[2:3]
	v_cvt_f32_f64_e32 v3, v[4:5]
	v_cvt_f32_f64_e32 v4, v[6:7]
	v_cvt_f32_f64_e32 v5, v[8:9]
	v_cvt_f32_f64_e32 v6, v[10:11]
	v_cvt_f32_f64_e32 v7, v[12:13]
	v_cvt_f32_f64_e32 v8, v[14:15]
	v_cvt_f32_f64_e32 v9, v[16:17]
	v_add_co_u32 v10, vcc_lo, v0, s4
	v_add_co_ci_u32_e32 v11, vcc_lo, s5, v1, vcc_lo
	v_add_co_u32 v12, vcc_lo, v10, s4
	v_add_co_ci_u32_e32 v13, vcc_lo, s5, v11, vcc_lo
	;; [unrolled: 2-line block ×3, first 2 shown]
	global_store_dwordx2 v[0:1], v[2:3], off
	global_store_dwordx2 v[10:11], v[4:5], off
	;; [unrolled: 1-line block ×4, first 2 shown]
.LBB0_31:
	s_endpgm
	.section	.rodata,"a",@progbits
	.p2align	6, 0x0
	.amdhsa_kernel bluestein_single_back_len528_dim1_sp_op_CI_CI
		.amdhsa_group_segment_fixed_size 4224
		.amdhsa_private_segment_fixed_size 0
		.amdhsa_kernarg_size 104
		.amdhsa_user_sgpr_count 6
		.amdhsa_user_sgpr_private_segment_buffer 1
		.amdhsa_user_sgpr_dispatch_ptr 0
		.amdhsa_user_sgpr_queue_ptr 0
		.amdhsa_user_sgpr_kernarg_segment_ptr 1
		.amdhsa_user_sgpr_dispatch_id 0
		.amdhsa_user_sgpr_flat_scratch_init 0
		.amdhsa_user_sgpr_private_segment_size 0
		.amdhsa_wavefront_size32 1
		.amdhsa_uses_dynamic_stack 0
		.amdhsa_system_sgpr_private_segment_wavefront_offset 0
		.amdhsa_system_sgpr_workgroup_id_x 1
		.amdhsa_system_sgpr_workgroup_id_y 0
		.amdhsa_system_sgpr_workgroup_id_z 0
		.amdhsa_system_sgpr_workgroup_info 0
		.amdhsa_system_vgpr_workitem_id 0
		.amdhsa_next_free_vgpr 189
		.amdhsa_next_free_sgpr 16
		.amdhsa_reserve_vcc 1
		.amdhsa_reserve_flat_scratch 0
		.amdhsa_float_round_mode_32 0
		.amdhsa_float_round_mode_16_64 0
		.amdhsa_float_denorm_mode_32 3
		.amdhsa_float_denorm_mode_16_64 3
		.amdhsa_dx10_clamp 1
		.amdhsa_ieee_mode 1
		.amdhsa_fp16_overflow 0
		.amdhsa_workgroup_processor_mode 1
		.amdhsa_memory_ordered 1
		.amdhsa_forward_progress 0
		.amdhsa_shared_vgpr_count 0
		.amdhsa_exception_fp_ieee_invalid_op 0
		.amdhsa_exception_fp_denorm_src 0
		.amdhsa_exception_fp_ieee_div_zero 0
		.amdhsa_exception_fp_ieee_overflow 0
		.amdhsa_exception_fp_ieee_underflow 0
		.amdhsa_exception_fp_ieee_inexact 0
		.amdhsa_exception_int_div_zero 0
	.end_amdhsa_kernel
	.text
.Lfunc_end0:
	.size	bluestein_single_back_len528_dim1_sp_op_CI_CI, .Lfunc_end0-bluestein_single_back_len528_dim1_sp_op_CI_CI
                                        ; -- End function
	.section	.AMDGPU.csdata,"",@progbits
; Kernel info:
; codeLenInByte = 11204
; NumSgprs: 18
; NumVgprs: 189
; ScratchSize: 0
; MemoryBound: 0
; FloatMode: 240
; IeeeMode: 1
; LDSByteSize: 4224 bytes/workgroup (compile time only)
; SGPRBlocks: 2
; VGPRBlocks: 23
; NumSGPRsForWavesPerEU: 18
; NumVGPRsForWavesPerEU: 189
; Occupancy: 5
; WaveLimiterHint : 1
; COMPUTE_PGM_RSRC2:SCRATCH_EN: 0
; COMPUTE_PGM_RSRC2:USER_SGPR: 6
; COMPUTE_PGM_RSRC2:TRAP_HANDLER: 0
; COMPUTE_PGM_RSRC2:TGID_X_EN: 1
; COMPUTE_PGM_RSRC2:TGID_Y_EN: 0
; COMPUTE_PGM_RSRC2:TGID_Z_EN: 0
; COMPUTE_PGM_RSRC2:TIDIG_COMP_CNT: 0
	.text
	.p2alignl 6, 3214868480
	.fill 48, 4, 3214868480
	.type	__hip_cuid_87fd9fe731346e60,@object ; @__hip_cuid_87fd9fe731346e60
	.section	.bss,"aw",@nobits
	.globl	__hip_cuid_87fd9fe731346e60
__hip_cuid_87fd9fe731346e60:
	.byte	0                               ; 0x0
	.size	__hip_cuid_87fd9fe731346e60, 1

	.ident	"AMD clang version 19.0.0git (https://github.com/RadeonOpenCompute/llvm-project roc-6.4.0 25133 c7fe45cf4b819c5991fe208aaa96edf142730f1d)"
	.section	".note.GNU-stack","",@progbits
	.addrsig
	.addrsig_sym __hip_cuid_87fd9fe731346e60
	.amdgpu_metadata
---
amdhsa.kernels:
  - .args:
      - .actual_access:  read_only
        .address_space:  global
        .offset:         0
        .size:           8
        .value_kind:     global_buffer
      - .actual_access:  read_only
        .address_space:  global
        .offset:         8
        .size:           8
        .value_kind:     global_buffer
      - .actual_access:  read_only
        .address_space:  global
        .offset:         16
        .size:           8
        .value_kind:     global_buffer
      - .actual_access:  read_only
        .address_space:  global
        .offset:         24
        .size:           8
        .value_kind:     global_buffer
      - .actual_access:  read_only
        .address_space:  global
        .offset:         32
        .size:           8
        .value_kind:     global_buffer
      - .offset:         40
        .size:           8
        .value_kind:     by_value
      - .address_space:  global
        .offset:         48
        .size:           8
        .value_kind:     global_buffer
      - .address_space:  global
        .offset:         56
        .size:           8
        .value_kind:     global_buffer
      - .address_space:  global
        .offset:         64
        .size:           8
        .value_kind:     global_buffer
      - .address_space:  global
        .offset:         72
        .size:           8
        .value_kind:     global_buffer
      - .offset:         80
        .size:           4
        .value_kind:     by_value
      - .address_space:  global
        .offset:         88
        .size:           8
        .value_kind:     global_buffer
      - .address_space:  global
        .offset:         96
        .size:           8
        .value_kind:     global_buffer
    .group_segment_fixed_size: 4224
    .kernarg_segment_align: 8
    .kernarg_segment_size: 104
    .language:       OpenCL C
    .language_version:
      - 2
      - 0
    .max_flat_workgroup_size: 48
    .name:           bluestein_single_back_len528_dim1_sp_op_CI_CI
    .private_segment_fixed_size: 0
    .sgpr_count:     18
    .sgpr_spill_count: 0
    .symbol:         bluestein_single_back_len528_dim1_sp_op_CI_CI.kd
    .uniform_work_group_size: 1
    .uses_dynamic_stack: false
    .vgpr_count:     189
    .vgpr_spill_count: 0
    .wavefront_size: 32
    .workgroup_processor_mode: 1
amdhsa.target:   amdgcn-amd-amdhsa--gfx1030
amdhsa.version:
  - 1
  - 2
...

	.end_amdgpu_metadata
